;; amdgpu-corpus repo=ROCm/rocFFT kind=compiled arch=gfx1030 opt=O3
	.text
	.amdgcn_target "amdgcn-amd-amdhsa--gfx1030"
	.amdhsa_code_object_version 6
	.protected	fft_rtc_fwd_len660_factors_11_6_10_wgs_110_tpt_110_halfLds_sp_ip_CI_unitstride_sbrr_R2C_dirReg ; -- Begin function fft_rtc_fwd_len660_factors_11_6_10_wgs_110_tpt_110_halfLds_sp_ip_CI_unitstride_sbrr_R2C_dirReg
	.globl	fft_rtc_fwd_len660_factors_11_6_10_wgs_110_tpt_110_halfLds_sp_ip_CI_unitstride_sbrr_R2C_dirReg
	.p2align	8
	.type	fft_rtc_fwd_len660_factors_11_6_10_wgs_110_tpt_110_halfLds_sp_ip_CI_unitstride_sbrr_R2C_dirReg,@function
fft_rtc_fwd_len660_factors_11_6_10_wgs_110_tpt_110_halfLds_sp_ip_CI_unitstride_sbrr_R2C_dirReg: ; @fft_rtc_fwd_len660_factors_11_6_10_wgs_110_tpt_110_halfLds_sp_ip_CI_unitstride_sbrr_R2C_dirReg
; %bb.0:
	s_clause 0x2
	s_load_dwordx4 s[8:11], s[4:5], 0x0
	s_load_dwordx2 s[2:3], s[4:5], 0x50
	s_load_dwordx2 s[12:13], s[4:5], 0x18
	v_mul_u32_u24_e32 v1, 0x254, v0
	v_mov_b32_e32 v3, 0
	v_add_nc_u32_sdwa v5, s6, v1 dst_sel:DWORD dst_unused:UNUSED_PAD src0_sel:DWORD src1_sel:WORD_1
	v_mov_b32_e32 v1, 0
	v_mov_b32_e32 v6, v3
	v_mov_b32_e32 v2, 0
	s_waitcnt lgkmcnt(0)
	v_cmp_lt_u64_e64 s0, s[10:11], 2
	s_and_b32 vcc_lo, exec_lo, s0
	s_cbranch_vccnz .LBB0_8
; %bb.1:
	s_load_dwordx2 s[0:1], s[4:5], 0x10
	v_mov_b32_e32 v1, 0
	s_add_u32 s6, s12, 8
	v_mov_b32_e32 v2, 0
	s_addc_u32 s7, s13, 0
	s_mov_b64 s[16:17], 1
	s_waitcnt lgkmcnt(0)
	s_add_u32 s14, s0, 8
	s_addc_u32 s15, s1, 0
.LBB0_2:                                ; =>This Inner Loop Header: Depth=1
	s_load_dwordx2 s[18:19], s[14:15], 0x0
                                        ; implicit-def: $vgpr7_vgpr8
	s_mov_b32 s0, exec_lo
	s_waitcnt lgkmcnt(0)
	v_or_b32_e32 v4, s19, v6
	v_cmpx_ne_u64_e32 0, v[3:4]
	s_xor_b32 s1, exec_lo, s0
	s_cbranch_execz .LBB0_4
; %bb.3:                                ;   in Loop: Header=BB0_2 Depth=1
	v_cvt_f32_u32_e32 v4, s18
	v_cvt_f32_u32_e32 v7, s19
	s_sub_u32 s0, 0, s18
	s_subb_u32 s20, 0, s19
	v_fmac_f32_e32 v4, 0x4f800000, v7
	v_rcp_f32_e32 v4, v4
	v_mul_f32_e32 v4, 0x5f7ffffc, v4
	v_mul_f32_e32 v7, 0x2f800000, v4
	v_trunc_f32_e32 v7, v7
	v_fmac_f32_e32 v4, 0xcf800000, v7
	v_cvt_u32_f32_e32 v7, v7
	v_cvt_u32_f32_e32 v4, v4
	v_mul_lo_u32 v8, s0, v7
	v_mul_hi_u32 v9, s0, v4
	v_mul_lo_u32 v10, s20, v4
	v_add_nc_u32_e32 v8, v9, v8
	v_mul_lo_u32 v9, s0, v4
	v_add_nc_u32_e32 v8, v8, v10
	v_mul_hi_u32 v10, v4, v9
	v_mul_lo_u32 v11, v4, v8
	v_mul_hi_u32 v12, v4, v8
	v_mul_hi_u32 v13, v7, v9
	v_mul_lo_u32 v9, v7, v9
	v_mul_hi_u32 v14, v7, v8
	v_mul_lo_u32 v8, v7, v8
	v_add_co_u32 v10, vcc_lo, v10, v11
	v_add_co_ci_u32_e32 v11, vcc_lo, 0, v12, vcc_lo
	v_add_co_u32 v9, vcc_lo, v10, v9
	v_add_co_ci_u32_e32 v9, vcc_lo, v11, v13, vcc_lo
	v_add_co_ci_u32_e32 v10, vcc_lo, 0, v14, vcc_lo
	v_add_co_u32 v8, vcc_lo, v9, v8
	v_add_co_ci_u32_e32 v9, vcc_lo, 0, v10, vcc_lo
	v_add_co_u32 v4, vcc_lo, v4, v8
	v_add_co_ci_u32_e32 v7, vcc_lo, v7, v9, vcc_lo
	v_mul_hi_u32 v8, s0, v4
	v_mul_lo_u32 v10, s20, v4
	v_mul_lo_u32 v9, s0, v7
	v_add_nc_u32_e32 v8, v8, v9
	v_mul_lo_u32 v9, s0, v4
	v_add_nc_u32_e32 v8, v8, v10
	v_mul_hi_u32 v10, v4, v9
	v_mul_lo_u32 v11, v4, v8
	v_mul_hi_u32 v12, v4, v8
	v_mul_hi_u32 v13, v7, v9
	v_mul_lo_u32 v9, v7, v9
	v_mul_hi_u32 v14, v7, v8
	v_mul_lo_u32 v8, v7, v8
	v_add_co_u32 v10, vcc_lo, v10, v11
	v_add_co_ci_u32_e32 v11, vcc_lo, 0, v12, vcc_lo
	v_add_co_u32 v9, vcc_lo, v10, v9
	v_add_co_ci_u32_e32 v9, vcc_lo, v11, v13, vcc_lo
	v_add_co_ci_u32_e32 v10, vcc_lo, 0, v14, vcc_lo
	v_add_co_u32 v8, vcc_lo, v9, v8
	v_add_co_ci_u32_e32 v9, vcc_lo, 0, v10, vcc_lo
	v_add_co_u32 v4, vcc_lo, v4, v8
	v_add_co_ci_u32_e32 v11, vcc_lo, v7, v9, vcc_lo
	v_mul_hi_u32 v13, v5, v4
	v_mad_u64_u32 v[9:10], null, v6, v4, 0
	v_mad_u64_u32 v[7:8], null, v5, v11, 0
	;; [unrolled: 1-line block ×3, first 2 shown]
	v_add_co_u32 v4, vcc_lo, v13, v7
	v_add_co_ci_u32_e32 v7, vcc_lo, 0, v8, vcc_lo
	v_add_co_u32 v4, vcc_lo, v4, v9
	v_add_co_ci_u32_e32 v4, vcc_lo, v7, v10, vcc_lo
	v_add_co_ci_u32_e32 v7, vcc_lo, 0, v12, vcc_lo
	v_add_co_u32 v4, vcc_lo, v4, v11
	v_add_co_ci_u32_e32 v9, vcc_lo, 0, v7, vcc_lo
	v_mul_lo_u32 v10, s19, v4
	v_mad_u64_u32 v[7:8], null, s18, v4, 0
	v_mul_lo_u32 v11, s18, v9
	v_sub_co_u32 v7, vcc_lo, v5, v7
	v_add3_u32 v8, v8, v11, v10
	v_sub_nc_u32_e32 v10, v6, v8
	v_subrev_co_ci_u32_e64 v10, s0, s19, v10, vcc_lo
	v_add_co_u32 v11, s0, v4, 2
	v_add_co_ci_u32_e64 v12, s0, 0, v9, s0
	v_sub_co_u32 v13, s0, v7, s18
	v_sub_co_ci_u32_e32 v8, vcc_lo, v6, v8, vcc_lo
	v_subrev_co_ci_u32_e64 v10, s0, 0, v10, s0
	v_cmp_le_u32_e32 vcc_lo, s18, v13
	v_cmp_eq_u32_e64 s0, s19, v8
	v_cndmask_b32_e64 v13, 0, -1, vcc_lo
	v_cmp_le_u32_e32 vcc_lo, s19, v10
	v_cndmask_b32_e64 v14, 0, -1, vcc_lo
	v_cmp_le_u32_e32 vcc_lo, s18, v7
	;; [unrolled: 2-line block ×3, first 2 shown]
	v_cndmask_b32_e64 v15, 0, -1, vcc_lo
	v_cmp_eq_u32_e32 vcc_lo, s19, v10
	v_cndmask_b32_e64 v7, v15, v7, s0
	v_cndmask_b32_e32 v10, v14, v13, vcc_lo
	v_add_co_u32 v13, vcc_lo, v4, 1
	v_add_co_ci_u32_e32 v14, vcc_lo, 0, v9, vcc_lo
	v_cmp_ne_u32_e32 vcc_lo, 0, v10
	v_cndmask_b32_e32 v8, v14, v12, vcc_lo
	v_cndmask_b32_e32 v10, v13, v11, vcc_lo
	v_cmp_ne_u32_e32 vcc_lo, 0, v7
	v_cndmask_b32_e32 v8, v9, v8, vcc_lo
	v_cndmask_b32_e32 v7, v4, v10, vcc_lo
.LBB0_4:                                ;   in Loop: Header=BB0_2 Depth=1
	s_andn2_saveexec_b32 s0, s1
	s_cbranch_execz .LBB0_6
; %bb.5:                                ;   in Loop: Header=BB0_2 Depth=1
	v_cvt_f32_u32_e32 v4, s18
	s_sub_i32 s1, 0, s18
	v_rcp_iflag_f32_e32 v4, v4
	v_mul_f32_e32 v4, 0x4f7ffffe, v4
	v_cvt_u32_f32_e32 v4, v4
	v_mul_lo_u32 v7, s1, v4
	v_mul_hi_u32 v7, v4, v7
	v_add_nc_u32_e32 v4, v4, v7
	v_mul_hi_u32 v4, v5, v4
	v_mul_lo_u32 v7, v4, s18
	v_add_nc_u32_e32 v8, 1, v4
	v_sub_nc_u32_e32 v7, v5, v7
	v_subrev_nc_u32_e32 v9, s18, v7
	v_cmp_le_u32_e32 vcc_lo, s18, v7
	v_cndmask_b32_e32 v7, v7, v9, vcc_lo
	v_cndmask_b32_e32 v4, v4, v8, vcc_lo
	v_cmp_le_u32_e32 vcc_lo, s18, v7
	v_add_nc_u32_e32 v8, 1, v4
	v_cndmask_b32_e32 v7, v4, v8, vcc_lo
	v_mov_b32_e32 v8, v3
.LBB0_6:                                ;   in Loop: Header=BB0_2 Depth=1
	s_or_b32 exec_lo, exec_lo, s0
	s_load_dwordx2 s[0:1], s[6:7], 0x0
	v_mul_lo_u32 v4, v8, s18
	v_mul_lo_u32 v11, v7, s19
	v_mad_u64_u32 v[9:10], null, v7, s18, 0
	s_add_u32 s16, s16, 1
	s_addc_u32 s17, s17, 0
	s_add_u32 s6, s6, 8
	s_addc_u32 s7, s7, 0
	;; [unrolled: 2-line block ×3, first 2 shown]
	v_add3_u32 v4, v10, v11, v4
	v_sub_co_u32 v5, vcc_lo, v5, v9
	v_sub_co_ci_u32_e32 v4, vcc_lo, v6, v4, vcc_lo
	s_waitcnt lgkmcnt(0)
	v_mul_lo_u32 v6, s1, v5
	v_mul_lo_u32 v4, s0, v4
	v_mad_u64_u32 v[1:2], null, s0, v5, v[1:2]
	v_cmp_ge_u64_e64 s0, s[16:17], s[10:11]
	s_and_b32 vcc_lo, exec_lo, s0
	v_add3_u32 v2, v6, v2, v4
	s_cbranch_vccnz .LBB0_9
; %bb.7:                                ;   in Loop: Header=BB0_2 Depth=1
	v_mov_b32_e32 v5, v7
	v_mov_b32_e32 v6, v8
	s_branch .LBB0_2
.LBB0_8:
	v_mov_b32_e32 v8, v6
	v_mov_b32_e32 v7, v5
.LBB0_9:
	s_lshl_b64 s[0:1], s[10:11], 3
	v_mul_hi_u32 v3, 0x253c826, v0
	s_add_u32 s0, s12, s0
	s_addc_u32 s1, s13, s1
	s_load_dwordx2 s[0:1], s[0:1], 0x0
	s_load_dwordx2 s[4:5], s[4:5], 0x20
	v_mul_u32_u24_e32 v3, 0x6e, v3
	v_sub_nc_u32_e32 v28, v0, v3
	v_lshl_add_u32 v34, v28, 3, 0
	s_waitcnt lgkmcnt(0)
	v_mul_lo_u32 v4, s0, v8
	v_mul_lo_u32 v5, s1, v7
	v_mad_u64_u32 v[1:2], null, s0, v7, v[1:2]
	v_cmp_gt_u64_e32 vcc_lo, s[4:5], v[7:8]
	v_add3_u32 v2, v5, v2, v4
	v_lshlrev_b64 v[30:31], 3, v[1:2]
	s_and_saveexec_b32 s1, vcc_lo
	s_cbranch_execz .LBB0_11
; %bb.10:
	v_mov_b32_e32 v29, 0
	v_add_co_u32 v2, s0, s2, v30
	v_add_co_ci_u32_e64 v3, s0, s3, v31, s0
	v_lshlrev_b64 v[0:1], 3, v[28:29]
	v_add_nc_u32_e32 v12, 0x400, v34
	v_add_nc_u32_e32 v13, 0xc00, v34
	v_add_co_u32 v0, s0, v2, v0
	v_add_co_ci_u32_e64 v1, s0, v3, v1, s0
	v_add_co_u32 v2, s0, 0x800, v0
	v_add_co_ci_u32_e64 v3, s0, 0, v1, s0
	;; [unrolled: 2-line block ×3, first 2 shown]
	s_clause 0x5
	global_load_dwordx2 v[6:7], v[0:1], off
	global_load_dwordx2 v[8:9], v[0:1], off offset:880
	global_load_dwordx2 v[0:1], v[0:1], off offset:1760
	;; [unrolled: 1-line block ×5, first 2 shown]
	s_waitcnt vmcnt(4)
	ds_write2_b64 v34, v[6:7], v[8:9] offset1:110
	s_waitcnt vmcnt(2)
	ds_write2_b64 v12, v[0:1], v[10:11] offset0:92 offset1:202
	s_waitcnt vmcnt(0)
	ds_write2_b64 v13, v[2:3], v[4:5] offset0:56 offset1:166
.LBB0_11:
	s_or_b32 exec_lo, exec_lo, s1
	s_waitcnt lgkmcnt(0)
	s_barrier
	buffer_gl0_inv
	ds_read2_b64 v[8:11], v34 offset1:60
	ds_read_b64 v[32:33], v34 offset:4800
	v_add_nc_u32_e32 v29, 0xc00, v34
	ds_read2_b64 v[24:27], v34 offset0:120 offset1:180
	ds_read2_b64 v[12:15], v29 offset0:96 offset1:156
	v_add_nc_u32_e32 v35, 0x400, v34
	v_add_nc_u32_e32 v0, 0x800, v34
	ds_read2_b64 v[20:23], v35 offset0:112 offset1:172
	ds_read2_b64 v[16:19], v0 offset0:104 offset1:164
	s_mov_b32 s1, exec_lo
	s_waitcnt lgkmcnt(0)
	s_barrier
	buffer_gl0_inv
	v_sub_f32_e32 v43, v11, v33
	v_sub_f32_e32 v47, v10, v32
	v_add_f32_e32 v36, v32, v10
	v_add_f32_e32 v37, v33, v11
	v_mul_f32_e32 v48, 0xbf68dda4, v43
	v_mul_f32_e32 v53, 0xbf68dda4, v47
	v_sub_f32_e32 v51, v24, v14
	v_sub_f32_e32 v45, v25, v15
	v_add_f32_e32 v38, v14, v24
	v_add_f32_e32 v39, v15, v25
	v_sub_f32_e32 v46, v27, v13
	v_fmamk_f32 v0, v36, 0x3ed4b147, v48
	v_fma_f32 v1, 0x3ed4b147, v37, -v53
	v_mul_f32_e32 v60, 0xbf4178ce, v45
	v_mul_f32_e32 v62, 0xbf4178ce, v51
	v_add_f32_e32 v40, v12, v26
	v_sub_f32_e32 v54, v26, v12
	v_mul_f32_e32 v59, 0x3e903f40, v46
	v_add_f32_e32 v0, v8, v0
	v_fmamk_f32 v2, v38, 0xbf27a4f4, v60
	v_add_f32_e32 v1, v9, v1
	v_fma_f32 v3, 0xbf27a4f4, v39, -v62
	v_mul_f32_e32 v66, 0xbf7d64f0, v43
	v_add_f32_e32 v41, v13, v27
	v_sub_f32_e32 v49, v21, v19
	v_mul_f32_e32 v61, 0x3e903f40, v54
	v_fmamk_f32 v4, v40, 0xbf75a155, v59
	v_add_f32_e32 v0, v2, v0
	v_sub_f32_e32 v57, v20, v18
	v_add_f32_e32 v1, v3, v1
	v_fmamk_f32 v3, v36, 0xbe11bafb, v66
	v_mul_f32_e32 v67, 0x3e903f40, v45
	v_mul_f32_e32 v73, 0xbf7d64f0, v47
	v_add_f32_e32 v42, v18, v20
	v_mul_f32_e32 v58, 0x3f7d64f0, v49
	v_fma_f32 v2, 0xbf75a155, v41, -v61
	v_add_f32_e32 v0, v4, v0
	v_add_f32_e32 v44, v19, v21
	v_mul_f32_e32 v63, 0x3f7d64f0, v57
	v_sub_f32_e32 v55, v23, v17
	v_sub_f32_e32 v56, v22, v16
	v_add_f32_e32 v3, v8, v3
	v_fmamk_f32 v4, v38, 0xbf75a155, v67
	v_mul_f32_e32 v69, 0x3f68dda4, v46
	v_fma_f32 v6, 0xbe11bafb, v37, -v73
	v_mul_f32_e32 v74, 0x3e903f40, v51
	v_fmamk_f32 v5, v42, 0xbe11bafb, v58
	v_add_f32_e32 v1, v2, v1
	v_fma_f32 v2, 0xbe11bafb, v44, -v63
	v_add_f32_e32 v50, v16, v22
	v_add_f32_e32 v52, v17, v23
	v_mul_f32_e32 v64, 0x3f0a6770, v55
	v_mul_f32_e32 v65, 0x3f0a6770, v56
	v_add_f32_e32 v3, v4, v3
	v_fmamk_f32 v4, v40, 0x3ed4b147, v69
	v_mul_f32_e32 v70, 0xbf0a6770, v49
	v_add_f32_e32 v6, v9, v6
	v_fma_f32 v7, 0xbf75a155, v39, -v74
	v_mul_f32_e32 v71, 0x3f68dda4, v54
	v_add_f32_e32 v0, v5, v0
	v_add_f32_e32 v1, v2, v1
	v_fmamk_f32 v2, v50, 0x3f575c64, v64
	v_fma_f32 v5, 0x3f575c64, v52, -v65
	v_add_f32_e32 v3, v4, v3
	v_fmamk_f32 v4, v42, 0x3f575c64, v70
	v_add_f32_e32 v6, v7, v6
	v_fma_f32 v7, 0x3ed4b147, v41, -v71
	v_mul_f32_e32 v72, 0xbf0a6770, v57
	v_mul_f32_e32 v78, 0xbf4178ce, v43
	v_add_f32_e32 v2, v2, v0
	v_add_f32_e32 v0, v4, v3
	;; [unrolled: 1-line block ×3, first 2 shown]
	v_fma_f32 v7, 0x3f575c64, v44, -v72
	v_add_f32_e32 v3, v5, v1
	v_fmamk_f32 v1, v36, 0xbf27a4f4, v78
	v_mul_f32_e32 v77, 0x3f7d64f0, v45
	v_mul_f32_e32 v80, 0xbf0a6770, v46
	v_add_f32_e32 v5, v7, v6
	v_mul_f32_e32 v68, 0xbf4178ce, v55
	v_add_f32_e32 v1, v8, v1
	v_fmamk_f32 v6, v38, 0xbe11bafb, v77
	v_mul_f32_e32 v79, 0xbe903f40, v49
	v_mul_f32_e32 v81, 0xbf4178ce, v47
	v_fmamk_f32 v4, v50, 0xbf27a4f4, v68
	v_mul_f32_e32 v86, 0xbe903f40, v43
	v_add_f32_e32 v1, v6, v1
	v_fmamk_f32 v6, v40, 0x3f575c64, v80
	v_mul_f32_e32 v94, 0xbe903f40, v47
	v_add_f32_e32 v0, v4, v0
	v_fma_f32 v4, 0xbf27a4f4, v37, -v81
	v_mul_f32_e32 v83, 0x3f7d64f0, v51
	v_add_f32_e32 v1, v6, v1
	v_fmamk_f32 v6, v42, 0xbf75a155, v79
	v_mul_f32_e32 v90, 0x3f0a6770, v45
	v_fma_f32 v87, 0xbf75a155, v37, -v94
	v_mul_f32_e32 v95, 0x3f0a6770, v51
	v_add_f32_e32 v4, v9, v4
	v_add_f32_e32 v6, v6, v1
	v_fmamk_f32 v1, v36, 0xbf75a155, v86
	v_fma_f32 v7, 0xbe11bafb, v39, -v83
	v_mul_f32_e32 v84, 0xbf0a6770, v54
	v_fmamk_f32 v88, v38, 0x3f575c64, v90
	v_mul_f32_e32 v89, 0xbf4178ce, v46
	v_add_f32_e32 v1, v8, v1
	v_add_f32_e32 v87, v9, v87
	v_fma_f32 v91, 0x3f575c64, v39, -v95
	v_mul_f32_e32 v93, 0xbf4178ce, v54
	v_add_f32_e32 v4, v7, v4
	v_fma_f32 v7, 0x3f575c64, v41, -v84
	v_mul_f32_e32 v82, 0xbe903f40, v57
	v_add_f32_e32 v1, v88, v1
	v_fmamk_f32 v97, v40, 0xbf27a4f4, v89
	v_mul_f32_e32 v88, 0x3f68dda4, v49
	v_add_f32_e32 v91, v91, v87
	v_fma_f32 v98, 0xbf27a4f4, v41, -v93
	v_mul_f32_e32 v92, 0x3f68dda4, v57
	v_mul_f32_e32 v75, 0xbf4178ce, v56
	v_add_f32_e32 v4, v7, v4
	v_fma_f32 v7, 0xbf75a155, v44, -v82
	v_mul_f32_e32 v76, 0x3f68dda4, v55
	v_mul_f32_e32 v85, 0x3f68dda4, v56
	v_add_f32_e32 v1, v97, v1
	v_fmamk_f32 v97, v42, 0x3ed4b147, v88
	v_mul_f32_e32 v87, 0xbf7d64f0, v55
	v_add_f32_e32 v98, v98, v91
	v_fma_f32 v99, 0x3ed4b147, v44, -v92
	v_mul_f32_e32 v91, 0xbf7d64f0, v56
	v_fma_f32 v96, 0xbf27a4f4, v52, -v75
	v_add_f32_e32 v4, v7, v4
	v_fmamk_f32 v7, v50, 0x3ed4b147, v76
	v_fma_f32 v100, 0x3ed4b147, v52, -v85
	v_add_f32_e32 v97, v97, v1
	v_fmamk_f32 v101, v50, 0xbe11bafb, v87
	v_add_f32_e32 v98, v99, v98
	v_fma_f32 v99, 0xbe11bafb, v52, -v91
	v_add_f32_e32 v1, v96, v5
	v_add_f32_e32 v6, v7, v6
	v_add_f32_e32 v7, v100, v4
	v_add_f32_e32 v4, v101, v97
	v_add_f32_e32 v5, v99, v98
	v_cmpx_gt_u32_e32 60, v28
	s_cbranch_execz .LBB0_13
; %bb.12:
	v_mul_f32_e32 v100, 0xbf75a155, v37
	v_mul_f32_e32 v103, 0xbf75a155, v36
	;; [unrolled: 1-line block ×5, first 2 shown]
	v_add_f32_e32 v94, v94, v100
	v_mul_f32_e32 v100, 0x3f575c64, v39
	v_sub_f32_e32 v86, v103, v86
	v_add_f32_e32 v93, v93, v110
	v_sub_f32_e32 v90, v109, v90
	v_add_f32_e32 v94, v9, v94
	v_add_f32_e32 v95, v95, v100
	v_add_f32_e32 v86, v8, v86
	v_mul_f32_e32 v105, 0xbf27a4f4, v39
	v_add_f32_e32 v53, v53, v97
	v_mul_f32_e32 v102, 0xbf27a4f4, v37
	v_add_f32_e32 v94, v95, v94
	v_add_f32_e32 v86, v90, v86
	v_mul_f32_e32 v90, 0xbe11bafb, v52
	v_mul_f32_e32 v103, 0xbf75a155, v41
	v_add_f32_e32 v53, v9, v53
	v_add_f32_e32 v93, v93, v94
	v_mul_f32_e32 v94, 0xbf27a4f4, v40
	v_add_f32_e32 v90, v91, v90
	v_mul_f32_e32 v91, 0x3ed4b147, v42
	;; [unrolled: 2-line block ×3, first 2 shown]
	v_sub_f32_e32 v89, v94, v89
	v_mul_f32_e32 v108, 0xbe11bafb, v39
	v_add_f32_e32 v81, v81, v102
	v_mul_f32_e32 v102, 0xbe11bafb, v44
	v_sub_f32_e32 v88, v91, v88
	v_add_f32_e32 v86, v89, v86
	v_mul_f32_e32 v91, 0xbe11bafb, v50
	v_add_f32_e32 v53, v62, v53
	v_add_f32_e32 v62, v61, v103
	v_mul_f32_e32 v104, 0xbf27a4f4, v38
	v_add_f32_e32 v83, v83, v108
	v_add_f32_e32 v81, v9, v81
	;; [unrolled: 1-line block ×3, first 2 shown]
	v_sub_f32_e32 v87, v91, v87
	v_sub_f32_e32 v48, v96, v48
	v_add_f32_e32 v53, v62, v53
	v_add_f32_e32 v62, v63, v102
	v_mul_f32_e32 v63, 0xbf0a6770, v47
	v_add_f32_e32 v11, v9, v11
	v_add_f32_e32 v10, v8, v10
	v_mul_f32_e32 v110, 0x3ed4b147, v44
	v_mul_f32_e32 v95, 0xbf75a155, v40
	v_add_f32_e32 v81, v83, v81
	v_add_f32_e32 v83, v87, v86
	v_mul_f32_e32 v86, 0x3f575c64, v52
	v_add_f32_e32 v47, v8, v48
	v_sub_f32_e32 v48, v104, v60
	v_add_f32_e32 v53, v62, v53
	v_fmamk_f32 v62, v37, 0x3f575c64, v63
	v_mul_f32_e32 v51, 0xbf68dda4, v51
	v_add_f32_e32 v11, v11, v25
	v_add_f32_e32 v10, v10, v24
	;; [unrolled: 1-line block ×4, first 2 shown]
	v_sub_f32_e32 v48, v95, v59
	v_add_f32_e32 v59, v65, v86
	v_add_f32_e32 v62, v9, v62
	v_fmamk_f32 v65, v39, 0x3ed4b147, v51
	v_mul_f32_e32 v54, 0xbf7d64f0, v54
	v_add_f32_e32 v11, v11, v27
	v_add_f32_e32 v10, v10, v26
	;; [unrolled: 1-line block ×3, first 2 shown]
	v_mul_f32_e32 v93, 0x3f575c64, v41
	v_mul_f32_e32 v89, 0xbe11bafb, v42
	v_add_f32_e32 v48, v48, v47
	v_add_f32_e32 v47, v59, v53
	;; [unrolled: 1-line block ×3, first 2 shown]
	v_fmamk_f32 v59, v41, 0xbe11bafb, v54
	v_mul_f32_e32 v43, 0xbf0a6770, v43
	v_add_f32_e32 v11, v11, v21
	v_add_f32_e32 v10, v10, v20
	v_mul_f32_e32 v98, 0xbe11bafb, v36
	v_mul_f32_e32 v99, 0xbe11bafb, v37
	;; [unrolled: 1-line block ×3, first 2 shown]
	v_add_f32_e32 v93, v84, v93
	v_mul_f32_e32 v101, 0xbf27a4f4, v36
	v_mul_f32_e32 v112, 0x3f575c64, v50
	v_sub_f32_e32 v58, v89, v58
	v_mul_f32_e32 v57, 0xbf4178ce, v57
	v_add_f32_e32 v53, v59, v53
	v_fma_f32 v59, 0x3f575c64, v36, -v43
	v_mul_f32_e32 v45, 0xbf68dda4, v45
	v_add_f32_e32 v23, v11, v23
	v_add_f32_e32 v10, v10, v22
	v_mul_f32_e32 v106, 0xbf75a155, v38
	v_mul_f32_e32 v107, 0xbf75a155, v39
	v_add_f32_e32 v81, v93, v81
	v_add_f32_e32 v82, v82, v111
	v_mul_f32_e32 v93, 0x3ed4b147, v52
	v_add_f32_e32 v73, v73, v99
	v_sub_f32_e32 v66, v98, v66
	v_mul_f32_e32 v100, 0xbe11bafb, v38
	v_sub_f32_e32 v78, v101, v78
	v_add_f32_e32 v48, v58, v48
	v_sub_f32_e32 v58, v112, v64
	v_fmamk_f32 v62, v44, 0xbf27a4f4, v57
	v_add_f32_e32 v59, v8, v59
	v_fma_f32 v64, 0x3ed4b147, v38, -v45
	v_mul_f32_e32 v46, 0xbf7d64f0, v46
	v_add_f32_e32 v17, v23, v17
	v_add_f32_e32 v16, v10, v16
	v_fma_f32 v23, 0x3f575c64, v37, -v63
	v_fmac_f32_e32 v43, 0x3f575c64, v36
	v_mul_f32_e32 v109, 0x3ed4b147, v40
	v_mul_f32_e32 v110, 0x3ed4b147, v41
	v_add_f32_e32 v81, v82, v81
	v_add_f32_e32 v82, v85, v93
	;; [unrolled: 1-line block ×5, first 2 shown]
	v_sub_f32_e32 v67, v106, v67
	v_mul_f32_e32 v94, 0x3f575c64, v40
	v_add_f32_e32 v78, v8, v78
	v_sub_f32_e32 v77, v100, v77
	v_add_f32_e32 v24, v62, v53
	v_add_f32_e32 v25, v64, v59
	v_fma_f32 v53, 0xbe11bafb, v40, -v46
	v_mul_f32_e32 v26, 0xbf4178ce, v49
	v_add_f32_e32 v17, v17, v19
	v_add_f32_e32 v16, v16, v18
	;; [unrolled: 1-line block ×3, first 2 shown]
	v_fma_f32 v18, 0x3ed4b147, v39, -v51
	v_add_f32_e32 v8, v8, v43
	v_fmac_f32_e32 v45, 0x3ed4b147, v38
	v_mul_f32_e32 v108, 0x3f575c64, v42
	v_mul_f32_e32 v88, 0x3f575c64, v44
	v_add_f32_e32 v74, v74, v85
	v_add_f32_e32 v71, v71, v110
	;; [unrolled: 1-line block ×3, first 2 shown]
	v_sub_f32_e32 v67, v109, v69
	v_mul_f32_e32 v91, 0xbf75a155, v42
	v_add_f32_e32 v77, v77, v78
	v_sub_f32_e32 v78, v94, v80
	v_mul_f32_e32 v27, 0xbe903f40, v56
	v_add_f32_e32 v25, v53, v25
	v_fma_f32 v20, 0xbf27a4f4, v42, -v26
	v_mul_f32_e32 v21, 0xbe903f40, v55
	v_add_f32_e32 v13, v17, v13
	v_add_f32_e32 v12, v16, v12
	;; [unrolled: 1-line block ×3, first 2 shown]
	v_fma_f32 v16, 0xbe11bafb, v41, -v54
	v_add_f32_e32 v8, v45, v8
	v_fmac_f32_e32 v46, 0xbe11bafb, v40
	v_add_f32_e32 v84, v90, v92
	v_mul_f32_e32 v87, 0xbf27a4f4, v50
	v_mul_f32_e32 v90, 0xbf27a4f4, v52
	v_add_f32_e32 v71, v71, v74
	v_add_f32_e32 v72, v72, v88
	;; [unrolled: 1-line block ×3, first 2 shown]
	v_sub_f32_e32 v67, v108, v70
	v_mul_f32_e32 v92, 0x3ed4b147, v50
	v_add_f32_e32 v77, v78, v77
	v_sub_f32_e32 v78, v91, v79
	v_fmamk_f32 v49, v52, 0xbf75a155, v27
	v_add_f32_e32 v20, v20, v25
	v_fma_f32 v22, 0xbf75a155, v50, -v21
	v_add_f32_e32 v13, v13, v15
	v_add_f32_e32 v12, v12, v14
	;; [unrolled: 1-line block ×3, first 2 shown]
	v_fma_f32 v15, 0xbf27a4f4, v44, -v57
	v_add_f32_e32 v16, v46, v8
	v_fmac_f32_e32 v26, 0xbf27a4f4, v42
	v_add_f32_e32 v69, v72, v71
	v_add_f32_e32 v71, v75, v90
	;; [unrolled: 1-line block ×3, first 2 shown]
	v_sub_f32_e32 v67, v87, v68
	v_add_f32_e32 v74, v78, v77
	v_sub_f32_e32 v70, v92, v76
	v_add_f32_e32 v11, v49, v24
	v_add_f32_e32 v10, v22, v20
	;; [unrolled: 1-line block ×5, first 2 shown]
	v_fma_f32 v13, 0xbf75a155, v52, -v27
	v_add_f32_e32 v14, v26, v16
	v_fmac_f32_e32 v21, 0xbf75a155, v50
	v_mad_u32_u24 v15, 0x50, v28, v34
	v_add_f32_e32 v61, v71, v69
	v_add_f32_e32 v60, v67, v66
	;; [unrolled: 1-line block ×7, first 2 shown]
	ds_write2_b64 v15, v[8:9], v[10:11] offset1:1
	ds_write2_b64 v15, v[46:47], v[60:61] offset0:2 offset1:3
	ds_write2_b64 v15, v[72:73], v[83:84] offset0:4 offset1:5
	ds_write2_b64 v15, v[4:5], v[6:7] offset0:6 offset1:7
	ds_write2_b64 v15, v[0:1], v[2:3] offset0:8 offset1:9
	ds_write_b64 v15, v[12:13] offset:80
.LBB0_13:
	s_or_b32 exec_lo, exec_lo, s1
	v_and_b32_e32 v8, 0xff, v28
	s_waitcnt lgkmcnt(0)
	s_barrier
	buffer_gl0_inv
	v_cmp_gt_u32_e64 s0, 0x42, v28
	v_mul_lo_u16 v8, 0x75, v8
	v_lshrrev_b16 v8, 8, v8
	v_sub_nc_u16 v9, v28, v8
	v_lshrrev_b16 v9, 1, v9
	v_and_b32_e32 v9, 0x7f, v9
	v_add_nc_u16 v8, v9, v8
	v_mov_b32_e32 v9, 5
	v_lshrrev_b16 v36, 3, v8
	v_mul_lo_u16 v8, v36, 11
	v_sub_nc_u16 v37, v28, v8
	v_mul_u32_u24_sdwa v8, v37, v9 dst_sel:DWORD dst_unused:UNUSED_PAD src0_sel:BYTE_0 src1_sel:DWORD
	v_lshlrev_b32_e32 v16, 3, v8
	s_clause 0x2
	global_load_dwordx4 v[8:11], v16, s[8:9]
	global_load_dwordx4 v[12:15], v16, s[8:9] offset:16
	global_load_dwordx2 v[32:33], v16, s[8:9] offset:32
	ds_read2_b64 v[16:19], v34 offset1:110
	ds_read2_b64 v[20:23], v35 offset0:92 offset1:202
	ds_read2_b64 v[24:27], v29 offset0:56 offset1:166
	v_mov_b32_e32 v29, 0x210
	v_mov_b32_e32 v35, 3
	s_waitcnt vmcnt(0) lgkmcnt(0)
	s_barrier
	buffer_gl0_inv
	v_mul_u32_u24_sdwa v29, v36, v29 dst_sel:DWORD dst_unused:UNUSED_PAD src0_sel:WORD_0 src1_sel:DWORD
	v_lshlrev_b32_sdwa v35, v35, v37 dst_sel:DWORD dst_unused:UNUSED_PAD src0_sel:DWORD src1_sel:BYTE_0
	v_add3_u32 v29, 0, v29, v35
	v_mul_f32_e32 v35, v9, v19
	v_mul_f32_e32 v36, v9, v18
	;; [unrolled: 1-line block ×10, first 2 shown]
	v_fma_f32 v18, v8, v18, -v35
	v_fmac_f32_e32 v36, v8, v19
	v_fma_f32 v8, v10, v20, -v9
	v_fmac_f32_e32 v11, v10, v21
	;; [unrolled: 2-line block ×3, first 2 shown]
	v_fma_f32 v10, v14, v24, -v38
	v_fma_f32 v12, v32, v26, -v39
	v_fmac_f32_e32 v33, v32, v27
	v_fmac_f32_e32 v15, v14, v25
	v_add_f32_e32 v25, v36, v13
	v_add_f32_e32 v19, v8, v10
	;; [unrolled: 1-line block ×3, first 2 shown]
	v_sub_f32_e32 v24, v13, v33
	v_add_f32_e32 v13, v13, v33
	v_sub_f32_e32 v20, v11, v15
	v_add_f32_e32 v22, v18, v9
	v_sub_f32_e32 v9, v9, v12
	v_fma_f32 v19, -0.5, v19, v16
	v_fmac_f32_e32 v18, -0.5, v23
	v_fmac_f32_e32 v36, -0.5, v13
	v_add_f32_e32 v14, v16, v8
	v_add_f32_e32 v21, v17, v11
	;; [unrolled: 1-line block ×3, first 2 shown]
	v_fmamk_f32 v16, v20, 0x3f5db3d7, v19
	v_fmac_f32_e32 v19, 0xbf5db3d7, v20
	v_fmamk_f32 v13, v24, 0x3f5db3d7, v18
	v_fmamk_f32 v20, v9, 0xbf5db3d7, v36
	v_fmac_f32_e32 v18, 0xbf5db3d7, v24
	v_fmac_f32_e32 v36, 0x3f5db3d7, v9
	v_sub_f32_e32 v8, v8, v10
	v_add_f32_e32 v15, v21, v15
	v_fma_f32 v21, -0.5, v11, v17
	v_add_f32_e32 v11, v22, v12
	v_add_f32_e32 v12, v25, v33
	v_mul_f32_e32 v22, 0x3f5db3d7, v20
	v_mul_f32_e32 v23, -0.5, v18
	v_mul_f32_e32 v24, 0xbf5db3d7, v13
	v_mul_f32_e32 v25, -0.5, v36
	v_add_f32_e32 v10, v14, v10
	v_fmamk_f32 v17, v8, 0xbf5db3d7, v21
	v_fmac_f32_e32 v21, 0x3f5db3d7, v8
	v_fmac_f32_e32 v22, 0.5, v13
	v_fmac_f32_e32 v23, 0x3f5db3d7, v36
	v_fmac_f32_e32 v24, 0.5, v20
	v_fmac_f32_e32 v25, 0xbf5db3d7, v18
	v_add_f32_e32 v8, v10, v11
	v_add_f32_e32 v9, v15, v12
	v_sub_f32_e32 v14, v10, v11
	v_sub_f32_e32 v15, v15, v12
	v_add_f32_e32 v10, v16, v22
	v_add_f32_e32 v12, v19, v23
	;; [unrolled: 1-line block ×4, first 2 shown]
	v_sub_f32_e32 v16, v16, v22
	v_sub_f32_e32 v18, v19, v23
	v_sub_f32_e32 v17, v17, v24
	v_sub_f32_e32 v19, v21, v25
	ds_write2_b64 v29, v[8:9], v[10:11] offset1:11
	ds_write2_b64 v29, v[12:13], v[14:15] offset0:22 offset1:33
	ds_write2_b64 v29, v[16:17], v[18:19] offset0:44 offset1:55
	s_waitcnt lgkmcnt(0)
	s_barrier
	buffer_gl0_inv
	s_and_saveexec_b32 s1, s0
	s_cbranch_execz .LBB0_15
; %bb.14:
	v_add_nc_u32_e32 v0, 0x800, v34
	v_add_nc_u32_e32 v1, 0x1000, v34
	ds_read2_b64 v[8:11], v34 offset1:66
	ds_read2_b64 v[12:15], v34 offset0:132 offset1:198
	ds_read2_b64 v[16:19], v0 offset0:8 offset1:74
	;; [unrolled: 1-line block ×4, first 2 shown]
.LBB0_15:
	s_or_b32 exec_lo, exec_lo, s1
	s_waitcnt lgkmcnt(0)
	s_barrier
	buffer_gl0_inv
	s_and_saveexec_b32 s1, s0
	s_cbranch_execz .LBB0_17
; %bb.16:
	v_add_nc_u32_e32 v20, 0xffffffbe, v28
	v_mov_b32_e32 v21, 0
	v_add_nc_u32_e32 v29, 0x800, v34
	v_add_nc_u32_e32 v43, 0x1000, v34
	v_cndmask_b32_e64 v20, v20, v28, s0
	v_mul_i32_i24_e32 v20, 9, v20
	v_lshlrev_b64 v[20:21], 3, v[20:21]
	v_add_co_u32 v32, s0, s8, v20
	v_add_co_ci_u32_e64 v33, s0, s9, v21, s0
	s_clause 0x4
	global_load_dwordx4 v[20:23], v[32:33], off offset:440
	global_load_dwordx4 v[24:27], v[32:33], off offset:456
	;; [unrolled: 1-line block ×4, first 2 shown]
	global_load_dwordx2 v[32:33], v[32:33], off offset:504
	s_waitcnt vmcnt(4)
	v_mul_f32_e32 v44, v12, v23
	s_waitcnt vmcnt(3)
	v_mul_f32_e32 v45, v16, v27
	;; [unrolled: 2-line block ×4, first 2 shown]
	v_mul_f32_e32 v23, v13, v23
	v_mul_f32_e32 v48, v15, v25
	;; [unrolled: 1-line block ×3, first 2 shown]
	s_waitcnt vmcnt(0)
	v_mul_f32_e32 v50, v3, v33
	v_mul_f32_e32 v51, v7, v36
	;; [unrolled: 1-line block ×11, first 2 shown]
	v_fmac_f32_e32 v44, v13, v22
	v_fmac_f32_e32 v45, v17, v26
	;; [unrolled: 1-line block ×4, first 2 shown]
	v_fma_f32 v5, v12, v22, -v23
	v_fma_f32 v12, v14, v24, -v48
	;; [unrolled: 1-line block ×5, first 2 shown]
	v_fmac_f32_e32 v25, v15, v24
	v_fmac_f32_e32 v33, v3, v32
	;; [unrolled: 1-line block ×4, first 2 shown]
	v_fma_f32 v1, v16, v26, -v27
	v_fma_f32 v4, v4, v41, -v42
	;; [unrolled: 1-line block ×4, first 2 shown]
	v_fmac_f32_e32 v21, v11, v20
	v_sub_f32_e32 v3, v44, v45
	v_sub_f32_e32 v7, v46, v47
	v_add_f32_e32 v15, v45, v47
	v_sub_f32_e32 v16, v12, v13
	v_sub_f32_e32 v17, v2, v6
	v_add_f32_e32 v18, v13, v6
	v_add_f32_e32 v27, v40, v36
	;; [unrolled: 1-line block ×4, first 2 shown]
	v_sub_f32_e32 v14, v5, v0
	v_sub_f32_e32 v19, v25, v33
	;; [unrolled: 1-line block ×8, first 2 shown]
	v_add_f32_e32 v37, v44, v46
	v_sub_f32_e32 v38, v13, v12
	v_sub_f32_e32 v39, v6, v2
	;; [unrolled: 1-line block ×3, first 2 shown]
	v_add_f32_e32 v50, v9, v44
	v_add_f32_e32 v25, v21, v25
	v_sub_f32_e32 v51, v5, v1
	v_add_f32_e32 v53, v1, v4
	v_sub_f32_e32 v55, v1, v5
	v_add_f32_e32 v57, v5, v0
	v_add_f32_e32 v5, v8, v5
	;; [unrolled: 1-line block ×4, first 2 shown]
	v_fma_f32 v58, -0.5, v15, v9
	v_add_f32_e32 v7, v16, v17
	v_fma_f32 v15, -0.5, v18, v10
	v_fma_f32 v17, -0.5, v27, v21
	;; [unrolled: 1-line block ×3, first 2 shown]
	v_sub_f32_e32 v20, v40, v36
	v_fma_f32 v10, -0.5, v41, v10
	v_sub_f32_e32 v11, v1, v4
	v_sub_f32_e32 v48, v36, v33
	v_add_f32_e32 v16, v22, v23
	v_add_f32_e32 v18, v32, v35
	v_fma_f32 v22, -0.5, v37, v9
	v_add_f32_e32 v9, v38, v39
	v_add_f32_e32 v27, v50, v45
	;; [unrolled: 1-line block ×3, first 2 shown]
	v_fma_f32 v35, -0.5, v53, v8
	v_fma_f32 v38, -0.5, v57, v8
	v_add_f32_e32 v1, v5, v1
	v_add_f32_e32 v5, v12, v13
	v_fmamk_f32 v8, v19, 0xbf737871, v15
	v_fmamk_f32 v13, v26, 0x3f737871, v17
	;; [unrolled: 1-line block ×3, first 2 shown]
	v_fmac_f32_e32 v17, 0xbf737871, v26
	v_fmac_f32_e32 v15, 0x3f737871, v19
	v_fmamk_f32 v40, v20, 0x3f737871, v10
	v_fmac_f32_e32 v21, 0x3f737871, v24
	v_fmac_f32_e32 v10, 0xbf737871, v20
	v_sub_f32_e32 v44, v44, v46
	v_add_f32_e32 v23, v42, v48
	v_fmamk_f32 v12, v14, 0x3f737871, v58
	v_fmac_f32_e32 v58, 0xbf737871, v14
	v_add_f32_e32 v27, v27, v47
	v_add_f32_e32 v25, v25, v36
	v_fmac_f32_e32 v13, 0x3f167918, v24
	v_fmac_f32_e32 v41, 0x3f167918, v26
	;; [unrolled: 1-line block ×4, first 2 shown]
	v_sub_f32_e32 v54, v45, v47
	v_fmac_f32_e32 v40, 0xbf167918, v19
	v_fmac_f32_e32 v21, 0xbf167918, v26
	;; [unrolled: 1-line block ×4, first 2 shown]
	v_sub_f32_e32 v52, v0, v4
	v_sub_f32_e32 v56, v4, v0
	v_fmamk_f32 v39, v11, 0xbf737871, v22
	v_fmac_f32_e32 v22, 0x3f737871, v11
	v_fmamk_f32 v36, v44, 0xbf737871, v35
	v_fmac_f32_e32 v35, 0x3f737871, v44
	v_add_f32_e32 v1, v1, v4
	v_add_f32_e32 v4, v5, v6
	v_fmac_f32_e32 v12, 0x3f167918, v11
	v_fmac_f32_e32 v58, 0xbf167918, v11
	v_add_f32_e32 v5, v27, v46
	v_add_f32_e32 v6, v25, v33
	v_fmac_f32_e32 v13, 0x3e9e377a, v16
	v_fmac_f32_e32 v41, 0x3e9e377a, v23
	;; [unrolled: 1-line block ×4, first 2 shown]
	v_fmamk_f32 v42, v54, 0x3f737871, v38
	v_fmac_f32_e32 v38, 0xbf737871, v54
	v_fmac_f32_e32 v40, 0x3e9e377a, v9
	;; [unrolled: 1-line block ×5, first 2 shown]
	v_add_f32_e32 v32, v51, v52
	v_fmac_f32_e32 v39, 0x3f167918, v14
	v_fmac_f32_e32 v22, 0xbf167918, v14
	v_fmac_f32_e32 v35, 0x3f167918, v54
	v_add_f32_e32 v11, v1, v0
	v_add_f32_e32 v2, v4, v2
	v_fmac_f32_e32 v12, 0x3e9e377a, v3
	v_fmac_f32_e32 v58, 0x3e9e377a, v3
	v_sub_f32_e32 v1, v5, v6
	v_add_f32_e32 v3, v5, v6
	v_mul_f32_e32 v4, 0x3f4f1bbd, v13
	v_mul_f32_e32 v5, 0x3e9e377a, v41
	v_mul_f32_e32 v14, 0xbf167918, v15
	v_mul_f32_e32 v20, 0x3f167918, v17
	v_add_f32_e32 v37, v55, v56
	v_fmac_f32_e32 v42, 0xbf167918, v44
	v_fmac_f32_e32 v38, 0x3f167918, v44
	v_mul_f32_e32 v6, 0xbf737871, v10
	v_mul_f32_e32 v9, 0x3e9e377a, v40
	;; [unrolled: 1-line block ×3, first 2 shown]
	v_fmac_f32_e32 v36, 0xbf167918, v54
	v_mul_f32_e32 v7, 0x3f4f1bbd, v8
	v_fmac_f32_e32 v39, 0x3e9e377a, v18
	v_fmac_f32_e32 v22, 0x3e9e377a, v18
	v_fmac_f32_e32 v35, 0x3e9e377a, v32
	v_fma_f32 v18, 0xbf167918, v8, -v4
	v_fma_f32 v19, 0xbf737871, v40, -v5
	v_fmac_f32_e32 v14, 0x3f4f1bbd, v17
	v_fmac_f32_e32 v20, 0x3f4f1bbd, v15
	;; [unrolled: 1-line block ×5, first 2 shown]
	v_fma_f32 v23, 0x3f737871, v41, -v9
	v_fmac_f32_e32 v16, 0x3e9e377a, v10
	v_fmac_f32_e32 v36, 0x3e9e377a, v32
	v_fma_f32 v21, 0x3f167918, v13, -v7
	v_sub_f32_e32 v0, v11, v2
	v_add_f32_e32 v2, v11, v2
	v_sub_f32_e32 v5, v12, v18
	v_sub_f32_e32 v7, v39, v19
	v_add_f32_e32 v13, v12, v18
	v_add_f32_e32 v15, v39, v19
	;; [unrolled: 1-line block ×4, first 2 shown]
	v_sub_f32_e32 v11, v58, v14
	v_sub_f32_e32 v8, v38, v16
	v_add_f32_e32 v17, v22, v6
	v_add_f32_e32 v14, v42, v23
	;; [unrolled: 1-line block ×4, first 2 shown]
	v_sub_f32_e32 v9, v22, v6
	v_sub_f32_e32 v10, v35, v20
	;; [unrolled: 1-line block ×4, first 2 shown]
	ds_write2_b64 v34, v[2:3], v[18:19] offset1:66
	ds_write2_b64 v34, v[16:17], v[14:15] offset0:132 offset1:198
	ds_write2_b64 v29, v[12:13], v[0:1] offset0:8 offset1:74
	;; [unrolled: 1-line block ×4, first 2 shown]
.LBB0_17:
	s_or_b32 exec_lo, exec_lo, s1
	s_waitcnt lgkmcnt(0)
	s_barrier
	buffer_gl0_inv
	ds_read_b64 v[0:1], v34
	v_lshlrev_b32_e32 v2, 3, v28
	s_add_u32 s1, s8, 0x1448
	s_addc_u32 s4, s9, 0
	s_mov_b32 s5, exec_lo
                                        ; implicit-def: $vgpr7
                                        ; implicit-def: $vgpr8
                                        ; implicit-def: $vgpr4_vgpr5
	v_sub_nc_u32_e32 v6, 0, v2
                                        ; implicit-def: $vgpr2
	v_cmpx_ne_u32_e32 0, v28
	s_xor_b32 s5, exec_lo, s5
	s_cbranch_execz .LBB0_19
; %bb.18:
	v_mov_b32_e32 v29, 0
	ds_read_b64 v[4:5], v6 offset:5280
	v_lshlrev_b64 v[2:3], 3, v[28:29]
	v_add_co_u32 v2, s0, s1, v2
	v_add_co_ci_u32_e64 v3, s0, s4, v3, s0
	global_load_dwordx2 v[2:3], v[2:3], off
	s_waitcnt lgkmcnt(0)
	v_sub_f32_e32 v7, v0, v4
	v_add_f32_e32 v8, v5, v1
	v_sub_f32_e32 v1, v1, v5
	v_add_f32_e32 v0, v4, v0
	v_mul_f32_e32 v5, 0.5, v7
	v_mul_f32_e32 v9, 0.5, v8
	;; [unrolled: 1-line block ×3, first 2 shown]
	s_waitcnt vmcnt(0)
	v_mul_f32_e32 v4, v3, v5
	v_fma_f32 v8, v9, v3, v1
	v_fma_f32 v1, v9, v3, -v1
	v_fma_f32 v7, 0.5, v0, v4
	v_fma_f32 v0, v0, 0.5, -v4
	v_fma_f32 v8, -v2, v5, v8
	v_fma_f32 v3, -v2, v5, v1
	v_mov_b32_e32 v4, v28
	v_fmac_f32_e32 v7, v2, v9
	v_fma_f32 v2, -v2, v9, v0
	v_mov_b32_e32 v5, v29
                                        ; implicit-def: $vgpr0_vgpr1
.LBB0_19:
	s_andn2_saveexec_b32 s0, s5
	s_cbranch_execz .LBB0_21
; %bb.20:
	v_mov_b32_e32 v8, 0
	v_mov_b32_e32 v4, 0
	s_waitcnt lgkmcnt(0)
	v_add_f32_e32 v7, v0, v1
	v_sub_f32_e32 v2, v0, v1
	v_mov_b32_e32 v5, 0
	ds_read_b32 v3, v8 offset:2644
	s_waitcnt lgkmcnt(0)
	v_xor_b32_e32 v0, 0x80000000, v3
	v_mov_b32_e32 v3, 0
	ds_write_b32 v8, v0 offset:2644
.LBB0_21:
	s_or_b32 exec_lo, exec_lo, s0
	s_waitcnt lgkmcnt(0)
	v_lshlrev_b64 v[0:1], 3, v[4:5]
	v_add_co_u32 v4, s0, s1, v0
	v_add_co_ci_u32_e64 v5, s0, s4, v1, s0
	s_clause 0x1
	global_load_dwordx2 v[9:10], v[4:5], off offset:880
	global_load_dwordx2 v[4:5], v[4:5], off offset:1760
	ds_write2_b32 v34, v7, v8 offset1:1
	ds_write_b64 v6, v[2:3] offset:5280
	ds_read_b64 v[2:3], v34 offset:880
	ds_read_b64 v[7:8], v6 offset:4400
	s_waitcnt lgkmcnt(0)
	v_sub_f32_e32 v11, v2, v7
	v_add_f32_e32 v12, v3, v8
	v_sub_f32_e32 v3, v3, v8
	v_add_f32_e32 v2, v2, v7
	v_mul_f32_e32 v8, 0.5, v11
	v_mul_f32_e32 v11, 0.5, v12
	;; [unrolled: 1-line block ×3, first 2 shown]
	s_waitcnt vmcnt(1)
	v_mul_f32_e32 v7, v10, v8
	v_fma_f32 v12, v11, v10, v3
	v_fma_f32 v3, v11, v10, -v3
	v_fma_f32 v10, 0.5, v2, v7
	v_fma_f32 v2, v2, 0.5, -v7
	v_fma_f32 v7, -v9, v8, v12
	v_fma_f32 v3, -v9, v8, v3
	v_fmac_f32_e32 v10, v9, v11
	v_fma_f32 v2, -v9, v11, v2
	ds_write2_b32 v34, v10, v7 offset0:220 offset1:221
	ds_write_b64 v6, v[2:3] offset:4400
	ds_read_b64 v[2:3], v34 offset:1760
	ds_read_b64 v[7:8], v6 offset:3520
	s_waitcnt lgkmcnt(0)
	v_sub_f32_e32 v9, v2, v7
	v_add_f32_e32 v10, v3, v8
	v_sub_f32_e32 v3, v3, v8
	v_add_f32_e32 v2, v2, v7
	v_mul_f32_e32 v8, 0.5, v9
	v_mul_f32_e32 v9, 0.5, v10
	;; [unrolled: 1-line block ×3, first 2 shown]
	s_waitcnt vmcnt(0)
	v_mul_f32_e32 v7, v5, v8
	v_fma_f32 v10, v9, v5, v3
	v_fma_f32 v3, v9, v5, -v3
	v_fma_f32 v11, 0.5, v2, v7
	v_fma_f32 v7, v2, 0.5, -v7
	v_add_nc_u32_e32 v2, 0x400, v34
	v_fma_f32 v10, -v4, v8, v10
	v_fma_f32 v5, -v4, v8, v3
	v_fmac_f32_e32 v11, v4, v9
	v_fma_f32 v4, -v4, v9, v7
	ds_write2_b32 v2, v11, v10 offset0:184 offset1:185
	ds_write_b64 v6, v[4:5] offset:3520
	s_waitcnt lgkmcnt(0)
	s_barrier
	buffer_gl0_inv
	s_and_saveexec_b32 s0, vcc_lo
	s_cbranch_execz .LBB0_24
; %bb.22:
	v_add_nc_u32_e32 v3, 0xc00, v34
	ds_read2_b64 v[4:7], v34 offset1:110
	ds_read2_b64 v[8:11], v2 offset0:92 offset1:202
	ds_read2_b64 v[12:15], v3 offset0:56 offset1:166
	v_add_co_u32 v2, vcc_lo, s2, v30
	v_add_co_ci_u32_e32 v3, vcc_lo, s3, v31, vcc_lo
	v_add_co_u32 v0, vcc_lo, v2, v0
	v_add_co_ci_u32_e32 v1, vcc_lo, v3, v1, vcc_lo
	v_cmp_eq_u32_e32 vcc_lo, 0x6d, v28
	v_add_co_u32 v16, s0, 0x800, v0
	v_add_co_ci_u32_e64 v17, s0, 0, v1, s0
	v_add_co_u32 v18, s0, 0x1000, v0
	v_add_co_ci_u32_e64 v19, s0, 0, v1, s0
	s_waitcnt lgkmcnt(2)
	global_store_dwordx2 v[0:1], v[4:5], off
	global_store_dwordx2 v[0:1], v[6:7], off offset:880
	s_waitcnt lgkmcnt(1)
	global_store_dwordx2 v[0:1], v[8:9], off offset:1760
	global_store_dwordx2 v[16:17], v[10:11], off offset:592
	s_waitcnt lgkmcnt(0)
	global_store_dwordx2 v[16:17], v[12:13], off offset:1472
	global_store_dwordx2 v[18:19], v[14:15], off offset:304
	s_and_b32 exec_lo, exec_lo, vcc_lo
	s_cbranch_execz .LBB0_24
; %bb.23:
	v_mov_b32_e32 v0, 0
	v_add_co_u32 v2, vcc_lo, 0x1000, v2
	v_add_co_ci_u32_e32 v3, vcc_lo, 0, v3, vcc_lo
	ds_read_b64 v[0:1], v0 offset:5280
	s_waitcnt lgkmcnt(0)
	global_store_dwordx2 v[2:3], v[0:1], off offset:1184
.LBB0_24:
	s_endpgm
	.section	.rodata,"a",@progbits
	.p2align	6, 0x0
	.amdhsa_kernel fft_rtc_fwd_len660_factors_11_6_10_wgs_110_tpt_110_halfLds_sp_ip_CI_unitstride_sbrr_R2C_dirReg
		.amdhsa_group_segment_fixed_size 0
		.amdhsa_private_segment_fixed_size 0
		.amdhsa_kernarg_size 88
		.amdhsa_user_sgpr_count 6
		.amdhsa_user_sgpr_private_segment_buffer 1
		.amdhsa_user_sgpr_dispatch_ptr 0
		.amdhsa_user_sgpr_queue_ptr 0
		.amdhsa_user_sgpr_kernarg_segment_ptr 1
		.amdhsa_user_sgpr_dispatch_id 0
		.amdhsa_user_sgpr_flat_scratch_init 0
		.amdhsa_user_sgpr_private_segment_size 0
		.amdhsa_wavefront_size32 1
		.amdhsa_uses_dynamic_stack 0
		.amdhsa_system_sgpr_private_segment_wavefront_offset 0
		.amdhsa_system_sgpr_workgroup_id_x 1
		.amdhsa_system_sgpr_workgroup_id_y 0
		.amdhsa_system_sgpr_workgroup_id_z 0
		.amdhsa_system_sgpr_workgroup_info 0
		.amdhsa_system_vgpr_workitem_id 0
		.amdhsa_next_free_vgpr 113
		.amdhsa_next_free_sgpr 21
		.amdhsa_reserve_vcc 1
		.amdhsa_reserve_flat_scratch 0
		.amdhsa_float_round_mode_32 0
		.amdhsa_float_round_mode_16_64 0
		.amdhsa_float_denorm_mode_32 3
		.amdhsa_float_denorm_mode_16_64 3
		.amdhsa_dx10_clamp 1
		.amdhsa_ieee_mode 1
		.amdhsa_fp16_overflow 0
		.amdhsa_workgroup_processor_mode 1
		.amdhsa_memory_ordered 1
		.amdhsa_forward_progress 0
		.amdhsa_shared_vgpr_count 0
		.amdhsa_exception_fp_ieee_invalid_op 0
		.amdhsa_exception_fp_denorm_src 0
		.amdhsa_exception_fp_ieee_div_zero 0
		.amdhsa_exception_fp_ieee_overflow 0
		.amdhsa_exception_fp_ieee_underflow 0
		.amdhsa_exception_fp_ieee_inexact 0
		.amdhsa_exception_int_div_zero 0
	.end_amdhsa_kernel
	.text
.Lfunc_end0:
	.size	fft_rtc_fwd_len660_factors_11_6_10_wgs_110_tpt_110_halfLds_sp_ip_CI_unitstride_sbrr_R2C_dirReg, .Lfunc_end0-fft_rtc_fwd_len660_factors_11_6_10_wgs_110_tpt_110_halfLds_sp_ip_CI_unitstride_sbrr_R2C_dirReg
                                        ; -- End function
	.section	.AMDGPU.csdata,"",@progbits
; Kernel info:
; codeLenInByte = 6384
; NumSgprs: 23
; NumVgprs: 113
; ScratchSize: 0
; MemoryBound: 0
; FloatMode: 240
; IeeeMode: 1
; LDSByteSize: 0 bytes/workgroup (compile time only)
; SGPRBlocks: 2
; VGPRBlocks: 14
; NumSGPRsForWavesPerEU: 23
; NumVGPRsForWavesPerEU: 113
; Occupancy: 8
; WaveLimiterHint : 1
; COMPUTE_PGM_RSRC2:SCRATCH_EN: 0
; COMPUTE_PGM_RSRC2:USER_SGPR: 6
; COMPUTE_PGM_RSRC2:TRAP_HANDLER: 0
; COMPUTE_PGM_RSRC2:TGID_X_EN: 1
; COMPUTE_PGM_RSRC2:TGID_Y_EN: 0
; COMPUTE_PGM_RSRC2:TGID_Z_EN: 0
; COMPUTE_PGM_RSRC2:TIDIG_COMP_CNT: 0
	.text
	.p2alignl 6, 3214868480
	.fill 48, 4, 3214868480
	.type	__hip_cuid_b3d77140359b7a67,@object ; @__hip_cuid_b3d77140359b7a67
	.section	.bss,"aw",@nobits
	.globl	__hip_cuid_b3d77140359b7a67
__hip_cuid_b3d77140359b7a67:
	.byte	0                               ; 0x0
	.size	__hip_cuid_b3d77140359b7a67, 1

	.ident	"AMD clang version 19.0.0git (https://github.com/RadeonOpenCompute/llvm-project roc-6.4.0 25133 c7fe45cf4b819c5991fe208aaa96edf142730f1d)"
	.section	".note.GNU-stack","",@progbits
	.addrsig
	.addrsig_sym __hip_cuid_b3d77140359b7a67
	.amdgpu_metadata
---
amdhsa.kernels:
  - .args:
      - .actual_access:  read_only
        .address_space:  global
        .offset:         0
        .size:           8
        .value_kind:     global_buffer
      - .offset:         8
        .size:           8
        .value_kind:     by_value
      - .actual_access:  read_only
        .address_space:  global
        .offset:         16
        .size:           8
        .value_kind:     global_buffer
      - .actual_access:  read_only
        .address_space:  global
        .offset:         24
        .size:           8
        .value_kind:     global_buffer
      - .offset:         32
        .size:           8
        .value_kind:     by_value
      - .actual_access:  read_only
        .address_space:  global
        .offset:         40
        .size:           8
        .value_kind:     global_buffer
      - .actual_access:  read_only
        .address_space:  global
        .offset:         48
        .size:           8
        .value_kind:     global_buffer
      - .offset:         56
        .size:           4
        .value_kind:     by_value
      - .actual_access:  read_only
        .address_space:  global
        .offset:         64
        .size:           8
        .value_kind:     global_buffer
      - .actual_access:  read_only
        .address_space:  global
        .offset:         72
        .size:           8
        .value_kind:     global_buffer
      - .address_space:  global
        .offset:         80
        .size:           8
        .value_kind:     global_buffer
    .group_segment_fixed_size: 0
    .kernarg_segment_align: 8
    .kernarg_segment_size: 88
    .language:       OpenCL C
    .language_version:
      - 2
      - 0
    .max_flat_workgroup_size: 110
    .name:           fft_rtc_fwd_len660_factors_11_6_10_wgs_110_tpt_110_halfLds_sp_ip_CI_unitstride_sbrr_R2C_dirReg
    .private_segment_fixed_size: 0
    .sgpr_count:     23
    .sgpr_spill_count: 0
    .symbol:         fft_rtc_fwd_len660_factors_11_6_10_wgs_110_tpt_110_halfLds_sp_ip_CI_unitstride_sbrr_R2C_dirReg.kd
    .uniform_work_group_size: 1
    .uses_dynamic_stack: false
    .vgpr_count:     113
    .vgpr_spill_count: 0
    .wavefront_size: 32
    .workgroup_processor_mode: 1
amdhsa.target:   amdgcn-amd-amdhsa--gfx1030
amdhsa.version:
  - 1
  - 2
...

	.end_amdgpu_metadata
